;; amdgpu-corpus repo=ROCm/rocFFT kind=compiled arch=gfx906 opt=O3
	.text
	.amdgcn_target "amdgcn-amd-amdhsa--gfx906"
	.amdhsa_code_object_version 6
	.protected	fft_rtc_fwd_len810_factors_3_10_3_3_3_wgs_81_tpt_81_halfLds_half_ip_CI_unitstride_sbrr_R2C_dirReg ; -- Begin function fft_rtc_fwd_len810_factors_3_10_3_3_3_wgs_81_tpt_81_halfLds_half_ip_CI_unitstride_sbrr_R2C_dirReg
	.globl	fft_rtc_fwd_len810_factors_3_10_3_3_3_wgs_81_tpt_81_halfLds_half_ip_CI_unitstride_sbrr_R2C_dirReg
	.p2align	8
	.type	fft_rtc_fwd_len810_factors_3_10_3_3_3_wgs_81_tpt_81_halfLds_half_ip_CI_unitstride_sbrr_R2C_dirReg,@function
fft_rtc_fwd_len810_factors_3_10_3_3_3_wgs_81_tpt_81_halfLds_half_ip_CI_unitstride_sbrr_R2C_dirReg: ; @fft_rtc_fwd_len810_factors_3_10_3_3_3_wgs_81_tpt_81_halfLds_half_ip_CI_unitstride_sbrr_R2C_dirReg
; %bb.0:
	s_load_dwordx2 s[12:13], s[4:5], 0x50
	s_load_dwordx4 s[8:11], s[4:5], 0x0
	s_load_dwordx2 s[2:3], s[4:5], 0x18
	v_mul_u32_u24_e32 v1, 0x32a, v0
	v_add_u32_sdwa v5, s6, v1 dst_sel:DWORD dst_unused:UNUSED_PAD src0_sel:DWORD src1_sel:WORD_1
	v_mov_b32_e32 v3, 0
	s_waitcnt lgkmcnt(0)
	v_cmp_lt_u64_e64 s[0:1], s[10:11], 2
	v_mov_b32_e32 v1, 0
	v_mov_b32_e32 v6, v3
	s_and_b64 vcc, exec, s[0:1]
	v_mov_b32_e32 v2, 0
	s_cbranch_vccnz .LBB0_8
; %bb.1:
	s_load_dwordx2 s[0:1], s[4:5], 0x10
	s_add_u32 s6, s2, 8
	s_addc_u32 s7, s3, 0
	v_mov_b32_e32 v1, 0
	v_mov_b32_e32 v2, 0
	s_waitcnt lgkmcnt(0)
	s_add_u32 s14, s0, 8
	s_addc_u32 s15, s1, 0
	s_mov_b64 s[16:17], 1
.LBB0_2:                                ; =>This Inner Loop Header: Depth=1
	s_load_dwordx2 s[18:19], s[14:15], 0x0
                                        ; implicit-def: $vgpr7_vgpr8
	s_waitcnt lgkmcnt(0)
	v_or_b32_e32 v4, s19, v6
	v_cmp_ne_u64_e32 vcc, 0, v[3:4]
	s_and_saveexec_b64 s[0:1], vcc
	s_xor_b64 s[20:21], exec, s[0:1]
	s_cbranch_execz .LBB0_4
; %bb.3:                                ;   in Loop: Header=BB0_2 Depth=1
	v_cvt_f32_u32_e32 v4, s18
	v_cvt_f32_u32_e32 v7, s19
	s_sub_u32 s0, 0, s18
	s_subb_u32 s1, 0, s19
	v_mac_f32_e32 v4, 0x4f800000, v7
	v_rcp_f32_e32 v4, v4
	v_mul_f32_e32 v4, 0x5f7ffffc, v4
	v_mul_f32_e32 v7, 0x2f800000, v4
	v_trunc_f32_e32 v7, v7
	v_mac_f32_e32 v4, 0xcf800000, v7
	v_cvt_u32_f32_e32 v7, v7
	v_cvt_u32_f32_e32 v4, v4
	v_mul_lo_u32 v8, s0, v7
	v_mul_hi_u32 v9, s0, v4
	v_mul_lo_u32 v11, s1, v4
	v_mul_lo_u32 v10, s0, v4
	v_add_u32_e32 v8, v9, v8
	v_add_u32_e32 v8, v8, v11
	v_mul_hi_u32 v9, v4, v10
	v_mul_lo_u32 v11, v4, v8
	v_mul_hi_u32 v13, v4, v8
	v_mul_hi_u32 v12, v7, v10
	v_mul_lo_u32 v10, v7, v10
	v_mul_hi_u32 v14, v7, v8
	v_add_co_u32_e32 v9, vcc, v9, v11
	v_addc_co_u32_e32 v11, vcc, 0, v13, vcc
	v_mul_lo_u32 v8, v7, v8
	v_add_co_u32_e32 v9, vcc, v9, v10
	v_addc_co_u32_e32 v9, vcc, v11, v12, vcc
	v_addc_co_u32_e32 v10, vcc, 0, v14, vcc
	v_add_co_u32_e32 v8, vcc, v9, v8
	v_addc_co_u32_e32 v9, vcc, 0, v10, vcc
	v_add_co_u32_e32 v4, vcc, v4, v8
	v_addc_co_u32_e32 v7, vcc, v7, v9, vcc
	v_mul_lo_u32 v8, s0, v7
	v_mul_hi_u32 v9, s0, v4
	v_mul_lo_u32 v10, s1, v4
	v_mul_lo_u32 v11, s0, v4
	v_add_u32_e32 v8, v9, v8
	v_add_u32_e32 v8, v8, v10
	v_mul_lo_u32 v12, v4, v8
	v_mul_hi_u32 v13, v4, v11
	v_mul_hi_u32 v14, v4, v8
	;; [unrolled: 1-line block ×3, first 2 shown]
	v_mul_lo_u32 v11, v7, v11
	v_mul_hi_u32 v9, v7, v8
	v_add_co_u32_e32 v12, vcc, v13, v12
	v_addc_co_u32_e32 v13, vcc, 0, v14, vcc
	v_mul_lo_u32 v8, v7, v8
	v_add_co_u32_e32 v11, vcc, v12, v11
	v_addc_co_u32_e32 v10, vcc, v13, v10, vcc
	v_addc_co_u32_e32 v9, vcc, 0, v9, vcc
	v_add_co_u32_e32 v8, vcc, v10, v8
	v_addc_co_u32_e32 v9, vcc, 0, v9, vcc
	v_add_co_u32_e32 v4, vcc, v4, v8
	v_addc_co_u32_e32 v9, vcc, v7, v9, vcc
	v_mad_u64_u32 v[7:8], s[0:1], v5, v9, 0
	v_mul_hi_u32 v10, v5, v4
	v_add_co_u32_e32 v11, vcc, v10, v7
	v_addc_co_u32_e32 v12, vcc, 0, v8, vcc
	v_mad_u64_u32 v[7:8], s[0:1], v6, v4, 0
	v_mad_u64_u32 v[9:10], s[0:1], v6, v9, 0
	v_add_co_u32_e32 v4, vcc, v11, v7
	v_addc_co_u32_e32 v4, vcc, v12, v8, vcc
	v_addc_co_u32_e32 v7, vcc, 0, v10, vcc
	v_add_co_u32_e32 v4, vcc, v4, v9
	v_addc_co_u32_e32 v9, vcc, 0, v7, vcc
	v_mul_lo_u32 v10, s19, v4
	v_mul_lo_u32 v11, s18, v9
	v_mad_u64_u32 v[7:8], s[0:1], s18, v4, 0
	v_add3_u32 v8, v8, v11, v10
	v_sub_u32_e32 v10, v6, v8
	v_mov_b32_e32 v11, s19
	v_sub_co_u32_e32 v7, vcc, v5, v7
	v_subb_co_u32_e64 v10, s[0:1], v10, v11, vcc
	v_subrev_co_u32_e64 v11, s[0:1], s18, v7
	v_subbrev_co_u32_e64 v10, s[0:1], 0, v10, s[0:1]
	v_cmp_le_u32_e64 s[0:1], s19, v10
	v_cndmask_b32_e64 v12, 0, -1, s[0:1]
	v_cmp_le_u32_e64 s[0:1], s18, v11
	v_cndmask_b32_e64 v11, 0, -1, s[0:1]
	v_cmp_eq_u32_e64 s[0:1], s19, v10
	v_cndmask_b32_e64 v10, v12, v11, s[0:1]
	v_add_co_u32_e64 v11, s[0:1], 2, v4
	v_addc_co_u32_e64 v12, s[0:1], 0, v9, s[0:1]
	v_add_co_u32_e64 v13, s[0:1], 1, v4
	v_addc_co_u32_e64 v14, s[0:1], 0, v9, s[0:1]
	v_subb_co_u32_e32 v8, vcc, v6, v8, vcc
	v_cmp_ne_u32_e64 s[0:1], 0, v10
	v_cmp_le_u32_e32 vcc, s19, v8
	v_cndmask_b32_e64 v10, v14, v12, s[0:1]
	v_cndmask_b32_e64 v12, 0, -1, vcc
	v_cmp_le_u32_e32 vcc, s18, v7
	v_cndmask_b32_e64 v7, 0, -1, vcc
	v_cmp_eq_u32_e32 vcc, s19, v8
	v_cndmask_b32_e32 v7, v12, v7, vcc
	v_cmp_ne_u32_e32 vcc, 0, v7
	v_cndmask_b32_e64 v7, v13, v11, s[0:1]
	v_cndmask_b32_e32 v8, v9, v10, vcc
	v_cndmask_b32_e32 v7, v4, v7, vcc
.LBB0_4:                                ;   in Loop: Header=BB0_2 Depth=1
	s_andn2_saveexec_b64 s[0:1], s[20:21]
	s_cbranch_execz .LBB0_6
; %bb.5:                                ;   in Loop: Header=BB0_2 Depth=1
	v_cvt_f32_u32_e32 v4, s18
	s_sub_i32 s20, 0, s18
	v_rcp_iflag_f32_e32 v4, v4
	v_mul_f32_e32 v4, 0x4f7ffffe, v4
	v_cvt_u32_f32_e32 v4, v4
	v_mul_lo_u32 v7, s20, v4
	v_mul_hi_u32 v7, v4, v7
	v_add_u32_e32 v4, v4, v7
	v_mul_hi_u32 v4, v5, v4
	v_mul_lo_u32 v7, v4, s18
	v_add_u32_e32 v8, 1, v4
	v_sub_u32_e32 v7, v5, v7
	v_subrev_u32_e32 v9, s18, v7
	v_cmp_le_u32_e32 vcc, s18, v7
	v_cndmask_b32_e32 v7, v7, v9, vcc
	v_cndmask_b32_e32 v4, v4, v8, vcc
	v_add_u32_e32 v8, 1, v4
	v_cmp_le_u32_e32 vcc, s18, v7
	v_cndmask_b32_e32 v7, v4, v8, vcc
	v_mov_b32_e32 v8, v3
.LBB0_6:                                ;   in Loop: Header=BB0_2 Depth=1
	s_or_b64 exec, exec, s[0:1]
	v_mul_lo_u32 v4, v8, s18
	v_mul_lo_u32 v11, v7, s19
	v_mad_u64_u32 v[9:10], s[0:1], v7, s18, 0
	s_load_dwordx2 s[0:1], s[6:7], 0x0
	s_add_u32 s16, s16, 1
	v_add3_u32 v4, v10, v11, v4
	v_sub_co_u32_e32 v5, vcc, v5, v9
	v_subb_co_u32_e32 v4, vcc, v6, v4, vcc
	s_waitcnt lgkmcnt(0)
	v_mul_lo_u32 v4, s0, v4
	v_mul_lo_u32 v6, s1, v5
	v_mad_u64_u32 v[1:2], s[0:1], s0, v5, v[1:2]
	s_addc_u32 s17, s17, 0
	s_add_u32 s6, s6, 8
	v_add3_u32 v2, v6, v2, v4
	v_mov_b32_e32 v4, s10
	v_mov_b32_e32 v5, s11
	s_addc_u32 s7, s7, 0
	v_cmp_ge_u64_e32 vcc, s[16:17], v[4:5]
	s_add_u32 s14, s14, 8
	s_addc_u32 s15, s15, 0
	s_cbranch_vccnz .LBB0_9
; %bb.7:                                ;   in Loop: Header=BB0_2 Depth=1
	v_mov_b32_e32 v5, v7
	v_mov_b32_e32 v6, v8
	s_branch .LBB0_2
.LBB0_8:
	v_mov_b32_e32 v8, v6
	v_mov_b32_e32 v7, v5
.LBB0_9:
	s_lshl_b64 s[0:1], s[10:11], 3
	s_add_u32 s0, s2, s0
	s_addc_u32 s1, s3, s1
	s_load_dwordx2 s[2:3], s[0:1], 0x0
	s_load_dwordx2 s[6:7], s[4:5], 0x20
                                        ; implicit-def: $vgpr6
	s_waitcnt lgkmcnt(0)
	v_mad_u64_u32 v[1:2], s[0:1], s2, v7, v[1:2]
	s_mov_b32 s0, 0x3291620
	v_mul_lo_u32 v3, s2, v8
	v_mul_lo_u32 v4, s3, v7
	v_mul_hi_u32 v5, v0, s0
	v_cmp_gt_u64_e32 vcc, s[6:7], v[7:8]
	v_cmp_le_u64_e64 s[0:1], s[6:7], v[7:8]
	v_add3_u32 v2, v4, v2, v3
	v_mul_u32_u24_e32 v3, 0x51, v5
	v_sub_u32_e32 v0, v0, v3
                                        ; implicit-def: $vgpr4
                                        ; implicit-def: $vgpr7
	s_and_saveexec_b64 s[2:3], s[0:1]
	s_xor_b64 s[0:1], exec, s[2:3]
; %bb.10:
	v_add_u32_e32 v4, 0x51, v0
	v_add_u32_e32 v7, 0xa2, v0
	;; [unrolled: 1-line block ×3, first 2 shown]
; %bb.11:
	s_or_saveexec_b64 s[2:3], s[0:1]
	v_lshlrev_b64 v[2:3], 2, v[1:2]
	v_lshl_add_u32 v16, v0, 2, 0
	s_xor_b64 exec, exec, s[2:3]
	s_cbranch_execz .LBB0_13
; %bb.12:
	v_mov_b32_e32 v1, 0
	v_mov_b32_e32 v4, s13
	v_add_co_u32_e64 v6, s[0:1], s12, v2
	v_addc_co_u32_e64 v7, s[0:1], v4, v3, s[0:1]
	v_lshlrev_b64 v[4:5], 2, v[0:1]
	v_add_u32_e32 v18, 0x600, v16
	v_add_co_u32_e64 v4, s[0:1], v6, v4
	v_addc_co_u32_e64 v5, s[0:1], v7, v5, s[0:1]
	global_load_dword v1, v[4:5], off
	global_load_dword v8, v[4:5], off offset:324
	global_load_dword v9, v[4:5], off offset:648
	;; [unrolled: 1-line block ×9, first 2 shown]
	v_add_u32_e32 v4, 0x51, v0
	v_add_u32_e32 v7, 0xa2, v0
	;; [unrolled: 1-line block ×5, first 2 shown]
	s_waitcnt vmcnt(8)
	ds_write2_b32 v16, v1, v8 offset1:81
	s_waitcnt vmcnt(6)
	ds_write2_b32 v16, v9, v10 offset0:162 offset1:243
	s_waitcnt vmcnt(4)
	ds_write2_b32 v5, v11, v12 offset0:68 offset1:149
	;; [unrolled: 2-line block ×4, first 2 shown]
.LBB0_13:
	s_or_b64 exec, exec, s[2:3]
	v_add_u32_e32 v19, 0x600, v16
	v_add_u32_e32 v1, 0xa00, v16
	;; [unrolled: 1-line block ×4, first 2 shown]
	s_waitcnt lgkmcnt(0)
	s_barrier
	ds_read2_b32 v[8:9], v19 offset0:48 offset1:129
	ds_read2_b32 v[10:11], v1 offset0:62 offset1:143
	;; [unrolled: 1-line block ×5, first 2 shown]
	ds_read2_b32 v[22:23], v16 offset1:81
	s_movk_i32 s0, 0x3aee
	s_mov_b32 s1, 0xffff
	s_waitcnt lgkmcnt(4)
	v_pk_add_f16 v1, v9, v11
	s_waitcnt lgkmcnt(1)
	v_pk_add_f16 v14, v24, v26
	v_pk_add_f16 v15, v24, v26 neg_lo:[0,1] neg_hi:[0,1]
	s_waitcnt lgkmcnt(0)
	v_pk_fma_f16 v14, v14, 0.5, v22 op_sel_hi:[1,0,1] neg_lo:[1,0,0] neg_hi:[1,0,0]
	v_pk_mul_f16 v15, v15, s0 op_sel_hi:[1,0]
	v_pk_add_f16 v5, v22, v24
	v_pk_add_f16 v22, v14, v15 op_sel:[0,1] op_sel_hi:[1,0]
	v_pk_add_f16 v24, v14, v15 op_sel:[0,1] op_sel_hi:[1,0] neg_lo:[0,1] neg_hi:[0,1]
	v_lshl_add_u32 v17, v0, 3, v16
	v_pk_add_f16 v5, v5, v26
	v_bfi_b32 v14, s1, v22, v24
	v_pk_fma_f16 v1, v1, 0.5, v13 op_sel_hi:[1,0,1] neg_lo:[1,0,0] neg_hi:[1,0,0]
	s_barrier
	ds_write2_b32 v17, v5, v14 offset1:1
	v_pk_add_f16 v5, v9, v11 neg_lo:[0,1] neg_hi:[0,1]
	v_pk_fma_f16 v14, v5, s0, v1 op_sel:[0,0,1] op_sel_hi:[1,0,0]
	v_pk_fma_f16 v18, v5, s0, v1 op_sel:[0,0,1] op_sel_hi:[1,0,0] neg_lo:[1,0,0] neg_hi:[1,0,0]
	v_bfi_b32 v1, s1, v24, v22
	ds_write_b32 v17, v1 offset:8
	v_pk_add_f16 v17, v25, v27
	v_pk_add_f16 v24, v25, v27 neg_lo:[0,1] neg_hi:[0,1]
	v_pk_fma_f16 v17, v17, 0.5, v23 op_sel_hi:[1,0,1] neg_lo:[1,0,0] neg_hi:[1,0,0]
	v_pk_mul_f16 v24, v24, s0 op_sel_hi:[1,0]
	v_pk_add_f16 v22, v23, v25
	v_pk_add_f16 v25, v17, v24 op_sel:[0,1] op_sel_hi:[1,0]
	v_pk_add_f16 v17, v17, v24 op_sel:[0,1] op_sel_hi:[1,0] neg_lo:[0,1] neg_hi:[0,1]
	v_mad_i32_i24 v5, v4, 12, 0
	v_bfi_b32 v24, s1, v25, v17
	v_bfi_b32 v17, s1, v17, v25
	v_pk_add_f16 v23, v12, v8
	ds_write_b32 v5, v17 offset:8
	v_pk_add_f16 v17, v8, v10
	v_pk_add_f16 v8, v8, v10 neg_lo:[0,1] neg_hi:[0,1]
	v_pk_fma_f16 v12, v17, 0.5, v12 op_sel_hi:[1,0,1] neg_lo:[1,0,0] neg_hi:[1,0,0]
	v_pk_mul_f16 v8, v8, s0 op_sel_hi:[1,0]
	v_pk_add_f16 v23, v23, v10
	v_pk_add_f16 v10, v12, v8 op_sel:[0,1] op_sel_hi:[1,0]
	v_pk_add_f16 v8, v12, v8 op_sel:[0,1] op_sel_hi:[1,0] neg_lo:[0,1] neg_hi:[0,1]
	v_lshrrev_b32_e32 v15, 16, v14
	v_mad_i32_i24 v1, v7, 12, 0
	v_pk_add_f16 v22, v22, v27
	v_bfi_b32 v12, s1, v10, v8
	v_bfi_b32 v8, s1, v8, v10
	v_cmp_gt_u32_e64 s[0:1], 27, v0
	ds_write2_b32 v5, v22, v24 offset1:1
	ds_write2_b32 v1, v23, v12 offset1:1
	ds_write_b32 v1, v8 offset:8
	s_and_saveexec_b64 s[2:3], s[0:1]
	s_cbranch_execz .LBB0_15
; %bb.14:
	v_pk_add_f16 v9, v13, v9
	v_mad_i32_i24 v8, v6, 12, 0
	v_pk_add_f16 v9, v9, v11
	s_mov_b32 s4, 0x5040100
	ds_write_b32 v8, v9
	v_perm_b32 v9, v18, v15, s4
	v_alignbit_b32 v10, v14, v18, 16
	ds_write2_b32 v8, v9, v10 offset0:1 offset1:2
.LBB0_15:
	s_or_b64 exec, exec, s[2:3]
	s_movk_i32 s2, 0xab
	v_mul_lo_u16_sdwa v8, v0, s2 dst_sel:DWORD dst_unused:UNUSED_PAD src0_sel:BYTE_0 src1_sel:DWORD
	v_lshrrev_b16_e32 v8, 9, v8
	v_mul_lo_u16_e32 v9, 3, v8
	v_sub_u16_e32 v9, v0, v9
	v_mov_b32_e32 v10, 9
	v_mul_u32_u24_sdwa v10, v9, v10 dst_sel:DWORD dst_unused:UNUSED_PAD src0_sel:BYTE_0 src1_sel:DWORD
	v_lshlrev_b32_e32 v10, 2, v10
	s_waitcnt lgkmcnt(0)
	s_barrier
	global_load_dwordx4 v[25:28], v10, s[8:9]
	global_load_dwordx4 v[29:32], v10, s[8:9] offset:16
	global_load_dword v13, v10, s[8:9] offset:32
	v_lshlrev_b32_e32 v23, 3, v7
	v_lshlrev_b32_e32 v22, 3, v4
	v_sub_u32_e32 v24, v1, v23
	ds_read_b32 v37, v16
	v_lshl_add_u32 v17, v6, 2, 0
	ds_read2_b32 v[11:12], v21 offset0:68 offset1:149
	ds_read2_b32 v[33:34], v19 offset0:102 offset1:183
	;; [unrolled: 1-line block ×3, first 2 shown]
	v_sub_u32_e32 v10, v5, v22
	ds_read_b32 v38, v24
	ds_read_b32 v39, v10
	;; [unrolled: 1-line block ×3, first 2 shown]
	s_waitcnt lgkmcnt(5)
	v_lshrrev_b32_e32 v46, 16, v11
	s_waitcnt lgkmcnt(4)
	v_lshrrev_b32_e32 v42, 16, v33
	;; [unrolled: 2-line block ×5, first 2 shown]
	v_lshrrev_b32_e32 v44, 16, v35
	v_lshrrev_b32_e32 v43, 16, v34
	;; [unrolled: 1-line block ×4, first 2 shown]
	s_movk_i32 s4, 0x3b9c
	s_mov_b32 s3, 0xbb9c
	s_movk_i32 s5, 0x38b4
	s_mov_b32 s2, 0xb8b4
	s_movk_i32 s6, 0x34f2
	v_lshrrev_b32_e32 v41, 16, v37
	s_movk_i32 s7, 0x3a79
	v_mul_u32_u24_e32 v8, 0x78, v8
	s_waitcnt vmcnt(0)
	s_barrier
	v_mul_f16_sdwa v51, v25, v48 dst_sel:DWORD dst_unused:UNUSED_PAD src0_sel:WORD_1 src1_sel:DWORD
	v_mul_f16_sdwa v52, v25, v39 dst_sel:DWORD dst_unused:UNUSED_PAD src0_sel:WORD_1 src1_sel:DWORD
	;; [unrolled: 1-line block ×7, first 2 shown]
	v_fma_f16 v39, v25, v39, -v51
	v_fma_f16 v25, v25, v48, v52
	v_mul_f16_sdwa v48, v42, v30 dst_sel:DWORD dst_unused:UNUSED_PAD src0_sel:DWORD src1_sel:WORD_1
	v_mul_f16_sdwa v58, v28, v11 dst_sel:DWORD dst_unused:UNUSED_PAD src0_sel:WORD_1 src1_sel:DWORD
	v_fma_f16 v38, v26, v38, -v53
	v_mul_f16_sdwa v52, v33, v30 dst_sel:DWORD dst_unused:UNUSED_PAD src0_sel:DWORD src1_sel:WORD_1
	v_fma_f16 v26, v26, v49, v54
	v_fma_f16 v40, v27, v40, -v55
	v_fma_f16 v27, v27, v50, v56
	v_mul_f16_sdwa v50, v44, v32 dst_sel:DWORD dst_unused:UNUSED_PAD src0_sel:DWORD src1_sel:WORD_1
	v_mul_f16_sdwa v54, v35, v32 dst_sel:DWORD dst_unused:UNUSED_PAD src0_sel:DWORD src1_sel:WORD_1
	v_fma_f16 v11, v28, v11, -v57
	v_fma_f16 v33, v33, v30, -v48
	v_mul_f16_sdwa v59, v29, v47 dst_sel:DWORD dst_unused:UNUSED_PAD src0_sel:WORD_1 src1_sel:DWORD
	v_mul_f16_sdwa v51, v29, v12 dst_sel:DWORD dst_unused:UNUSED_PAD src0_sel:WORD_1 src1_sel:DWORD
	v_mul_f16_sdwa v49, v43, v31 dst_sel:DWORD dst_unused:UNUSED_PAD src0_sel:DWORD src1_sel:WORD_1
	v_mul_f16_sdwa v53, v34, v31 dst_sel:DWORD dst_unused:UNUSED_PAD src0_sel:DWORD src1_sel:WORD_1
	v_fma_f16 v46, v28, v46, v58
	v_mul_f16_sdwa v28, v45, v13 dst_sel:DWORD dst_unused:UNUSED_PAD src0_sel:DWORD src1_sel:WORD_1
	v_mul_f16_sdwa v55, v36, v13 dst_sel:DWORD dst_unused:UNUSED_PAD src0_sel:DWORD src1_sel:WORD_1
	v_fma_f16 v30, v42, v30, v52
	v_fma_f16 v35, v35, v32, -v50
	v_fma_f16 v32, v44, v32, v54
	v_add_f16_e32 v42, v11, v33
	v_fma_f16 v12, v29, v12, -v59
	v_fma_f16 v29, v29, v47, v51
	v_fma_f16 v34, v34, v31, -v49
	v_fma_f16 v31, v43, v31, v53
	;; [unrolled: 2-line block ×3, first 2 shown]
	v_sub_f16_e32 v43, v26, v32
	v_sub_f16_e32 v45, v38, v11
	;; [unrolled: 1-line block ×3, first 2 shown]
	v_fma_f16 v42, v42, -0.5, v37
	v_sub_f16_e32 v44, v46, v30
	v_add_f16_e32 v45, v45, v47
	v_fma_f16 v47, v43, s4, v42
	v_fma_f16 v42, v43, s3, v42
	;; [unrolled: 1-line block ×4, first 2 shown]
	v_add_f16_e32 v36, v37, v38
	v_fma_f16 v47, v45, s6, v47
	v_fma_f16 v42, v45, s6, v42
	v_add_f16_e32 v45, v38, v35
	v_add_f16_e32 v36, v36, v11
	v_fma_f16 v37, v45, -0.5, v37
	v_add_f16_e32 v36, v36, v33
	v_fma_f16 v45, v44, s3, v37
	v_fma_f16 v37, v44, s4, v37
	v_add_f16_e32 v44, v46, v30
	v_add_f16_e32 v36, v36, v35
	v_sub_f16_e32 v48, v11, v38
	v_sub_f16_e32 v49, v33, v35
	v_fma_f16 v44, v44, -0.5, v41
	v_sub_f16_e32 v35, v38, v35
	v_fma_f16 v45, v43, s5, v45
	v_add_f16_e32 v48, v48, v49
	v_fma_f16 v37, v43, s2, v37
	v_fma_f16 v38, v35, s3, v44
	v_sub_f16_e32 v11, v11, v33
	v_fma_f16 v45, v48, s6, v45
	v_fma_f16 v37, v48, s6, v37
	;; [unrolled: 1-line block ×3, first 2 shown]
	v_sub_f16_e32 v38, v26, v46
	v_sub_f16_e32 v48, v32, v30
	v_fma_f16 v44, v35, s4, v44
	v_add_f16_e32 v43, v41, v26
	v_add_f16_e32 v38, v38, v48
	v_fma_f16 v44, v11, s5, v44
	v_add_f16_e32 v43, v43, v46
	v_fma_f16 v33, v38, s6, v33
	v_fma_f16 v38, v38, s6, v44
	v_add_f16_e32 v44, v26, v32
	v_add_f16_e32 v43, v43, v30
	v_fma_f16 v41, v44, -0.5, v41
	v_add_f16_e32 v43, v43, v32
	v_fma_f16 v44, v11, s4, v41
	v_sub_f16_e32 v26, v46, v26
	v_sub_f16_e32 v30, v30, v32
	v_fma_f16 v11, v11, s3, v41
	v_add_f16_e32 v32, v12, v34
	v_fma_f16 v44, v35, s2, v44
	v_add_f16_e32 v26, v26, v30
	v_fma_f16 v11, v35, s5, v11
	v_fma_f16 v32, v32, -0.5, v39
	v_sub_f16_e32 v35, v27, v13
	v_fma_f16 v30, v26, s6, v44
	v_fma_f16 v41, v35, s4, v32
	v_sub_f16_e32 v44, v29, v31
	v_sub_f16_e32 v46, v40, v12
	;; [unrolled: 1-line block ×3, first 2 shown]
	v_fma_f16 v32, v35, s3, v32
	v_fma_f16 v41, v44, s5, v41
	v_add_f16_e32 v46, v46, v48
	v_fma_f16 v32, v44, s2, v32
	v_fma_f16 v11, v26, s6, v11
	v_add_f16_e32 v26, v39, v40
	;; [unrolled: 3-line block ×3, first 2 shown]
	v_add_f16_e32 v26, v26, v12
	v_fma_f16 v39, v46, -0.5, v39
	v_add_f16_e32 v26, v26, v34
	v_fma_f16 v46, v44, s3, v39
	v_fma_f16 v39, v44, s4, v39
	v_add_f16_e32 v44, v29, v31
	v_add_f16_e32 v26, v26, v28
	v_sub_f16_e32 v48, v12, v40
	v_sub_f16_e32 v49, v34, v28
	v_fma_f16 v44, v44, -0.5, v25
	v_sub_f16_e32 v28, v40, v28
	v_fma_f16 v46, v35, s5, v46
	v_add_f16_e32 v48, v48, v49
	v_fma_f16 v35, v35, s2, v39
	v_fma_f16 v40, v28, s3, v44
	v_sub_f16_e32 v12, v12, v34
	v_fma_f16 v46, v48, s6, v46
	v_fma_f16 v35, v48, s6, v35
	;; [unrolled: 1-line block ×3, first 2 shown]
	v_sub_f16_e32 v40, v27, v29
	v_sub_f16_e32 v48, v13, v31
	v_fma_f16 v44, v28, s4, v44
	v_add_f16_e32 v39, v25, v27
	v_add_f16_e32 v40, v40, v48
	v_fma_f16 v44, v12, s5, v44
	v_add_f16_e32 v39, v39, v29
	v_fma_f16 v34, v40, s6, v34
	v_fma_f16 v40, v40, s6, v44
	v_add_f16_e32 v44, v27, v13
	v_add_f16_e32 v39, v39, v31
	v_fma_f16 v25, v44, -0.5, v25
	v_add_f16_e32 v39, v39, v13
	v_fma_f16 v44, v12, s4, v25
	v_sub_f16_e32 v27, v29, v27
	v_sub_f16_e32 v13, v31, v13
	v_fma_f16 v44, v28, s2, v44
	v_add_f16_e32 v13, v27, v13
	v_fma_f16 v27, v13, s6, v44
	v_fma_f16 v12, v12, s3, v25
	v_mul_f16_e32 v29, 0x3b9c, v27
	v_fma_f16 v12, v28, s5, v12
	v_mul_f16_e32 v25, 0x38b4, v34
	;; [unrolled: 2-line block ×3, first 2 shown]
	v_fma_f16 v12, v13, s6, v12
	v_fma_f16 v25, v41, s7, v25
	v_mul_f16_e32 v44, 0x34f2, v35
	v_mul_f16_e32 v41, 0xb8b4, v41
	v_fma_f16 v27, v27, s6, v46
	v_fma_f16 v44, v12, s4, -v44
	v_mul_f16_e32 v49, 0x3a79, v32
	v_fma_f16 v34, v34, s7, v41
	v_add_f16_e32 v46, v30, v27
	v_mul_f16_e32 v12, 0x34f2, v12
	v_sub_f16_e32 v30, v30, v27
	v_mov_b32_e32 v27, 2
	v_add_f16_e32 v13, v36, v26
	v_add_f16_e32 v28, v47, v25
	v_fma_f16 v49, v40, s5, -v49
	v_add_f16_e32 v51, v43, v39
	v_add_f16_e32 v41, v33, v34
	v_fma_f16 v12, v35, s3, -v12
	v_mul_f16_e32 v40, 0x3a79, v40
	v_lshlrev_b32_sdwa v9, v27, v9 dst_sel:DWORD dst_unused:UNUSED_PAD src0_sel:DWORD src1_sel:BYTE_0
	v_add_f16_e32 v31, v45, v29
	v_add_f16_e32 v48, v37, v44
	;; [unrolled: 1-line block ×3, first 2 shown]
	v_fma_f16 v32, v32, s2, -v40
	v_sub_f16_e32 v11, v11, v12
	v_add3_u32 v8, 0, v8, v9
	v_pack_b32_f16 v9, v13, v51
	v_pack_b32_f16 v12, v28, v41
	v_add_f16_e32 v50, v42, v49
	v_add_f16_e32 v40, v38, v32
	v_sub_f16_e32 v36, v36, v26
	v_sub_f16_e32 v39, v43, v39
	ds_write2_b32 v8, v9, v12 offset1:3
	v_pack_b32_f16 v9, v31, v46
	v_pack_b32_f16 v12, v48, v35
	v_sub_f16_e32 v47, v47, v25
	v_sub_f16_e32 v29, v45, v29
	;; [unrolled: 1-line block ×3, first 2 shown]
	ds_write2_b32 v8, v9, v12 offset0:6 offset1:9
	v_pack_b32_f16 v9, v50, v40
	v_pack_b32_f16 v12, v36, v39
	v_sub_f16_e32 v37, v37, v44
	v_sub_f16_e32 v25, v42, v49
	;; [unrolled: 1-line block ×3, first 2 shown]
	ds_write2_b32 v8, v9, v12 offset0:12 offset1:15
	v_pack_b32_f16 v9, v47, v33
	v_pack_b32_f16 v12, v29, v30
	ds_write2_b32 v8, v9, v12 offset0:18 offset1:21
	v_pack_b32_f16 v9, v37, v11
	v_pack_b32_f16 v11, v25, v26
	ds_write2_b32 v8, v9, v11 offset0:24 offset1:27
	s_waitcnt lgkmcnt(0)
	s_barrier
	ds_read2_b32 v[12:13], v21 offset0:14 offset1:95
	ds_read2_b32 v[8:9], v19 offset0:48 offset1:156
	ds_read_b32 v21, v10
	ds_read2_b32 v[10:11], v20 offset0:109 offset1:190
	ds_read_b32 v20, v16
	ds_read_b32 v19, v24
	v_lshrrev_b32_e32 v24, 16, v18
	s_and_saveexec_b64 s[2:3], s[0:1]
	s_cbranch_execz .LBB0_17
; %bb.16:
	ds_read_b32 v25, v17
	ds_read_b32 v24, v16 offset:3132
	ds_read_b32 v15, v16 offset:2052
	s_waitcnt lgkmcnt(2)
	v_lshrrev_b32_e32 v26, 16, v25
	s_waitcnt lgkmcnt(1)
	v_lshrrev_b32_e32 v14, 16, v24
	;; [unrolled: 2-line block ×3, first 2 shown]
.LBB0_17:
	s_or_b64 exec, exec, s[2:3]
	s_movk_i32 s2, 0x89
	v_mul_lo_u16_sdwa v28, v0, s2 dst_sel:DWORD dst_unused:UNUSED_PAD src0_sel:BYTE_0 src1_sel:DWORD
	v_lshrrev_b16_e32 v39, 12, v28
	v_mul_lo_u16_sdwa v30, v4, s2 dst_sel:DWORD dst_unused:UNUSED_PAD src0_sel:BYTE_0 src1_sel:DWORD
	v_mul_lo_u16_e32 v28, 30, v39
	v_lshrrev_b16_e32 v41, 12, v30
	v_sub_u16_e32 v40, v0, v28
	v_mov_b32_e32 v28, 3
	v_mul_lo_u16_e32 v30, 30, v41
	v_lshlrev_b32_sdwa v29, v28, v40 dst_sel:DWORD dst_unused:UNUSED_PAD src0_sel:DWORD src1_sel:BYTE_0
	v_sub_u16_e32 v42, v4, v30
	v_mul_lo_u16_sdwa v30, v7, s2 dst_sel:DWORD dst_unused:UNUSED_PAD src0_sel:BYTE_0 src1_sel:DWORD
	global_load_dwordx2 v[31:32], v29, s[8:9] offset:108
	v_lshlrev_b32_sdwa v29, v28, v42 dst_sel:DWORD dst_unused:UNUSED_PAD src0_sel:DWORD src1_sel:BYTE_0
	v_lshrrev_b16_e32 v43, 12, v30
	global_load_dwordx2 v[33:34], v29, s[8:9] offset:108
	v_mul_lo_u16_e32 v29, 30, v43
	v_sub_u16_e32 v44, v7, v29
	v_lshlrev_b32_sdwa v28, v28, v44 dst_sel:DWORD dst_unused:UNUSED_PAD src0_sel:DWORD src1_sel:BYTE_0
	s_mov_b32 s2, 0x8889
	global_load_dwordx2 v[35:36], v28, s[8:9] offset:108
	v_mul_u32_u24_sdwa v28, v6, s2 dst_sel:DWORD dst_unused:UNUSED_PAD src0_sel:WORD_0 src1_sel:DWORD
	v_lshrrev_b32_e32 v28, 20, v28
	v_mul_lo_u16_e32 v28, 30, v28
	v_sub_u16_e32 v30, v6, v28
	v_lshlrev_b32_e32 v28, 3, v30
	global_load_dwordx2 v[37:38], v28, s[8:9] offset:108
	s_waitcnt lgkmcnt(5)
	v_lshrrev_b32_e32 v46, 16, v12
	s_waitcnt lgkmcnt(4)
	v_lshrrev_b32_e32 v47, 16, v9
	v_lshrrev_b32_e32 v48, 16, v13
	s_waitcnt lgkmcnt(2)
	v_lshrrev_b32_e32 v49, 16, v10
	v_sub_u32_e32 v29, 0, v22
	s_waitcnt lgkmcnt(1)
	v_lshrrev_b32_e32 v22, 16, v20
	v_sub_u32_e32 v28, 0, v23
	v_lshrrev_b32_e32 v23, 16, v21
	s_movk_i32 s2, 0x3aee
	s_mov_b32 s3, 0xbaee
	v_lshrrev_b32_e32 v50, 16, v8
	v_lshrrev_b32_e32 v51, 16, v11
	s_waitcnt lgkmcnt(0)
	v_lshrrev_b32_e32 v45, 16, v19
	s_waitcnt vmcnt(0)
	s_barrier
	v_mul_f16_sdwa v52, v31, v46 dst_sel:DWORD dst_unused:UNUSED_PAD src0_sel:WORD_1 src1_sel:DWORD
	v_mul_f16_sdwa v54, v32, v47 dst_sel:DWORD dst_unused:UNUSED_PAD src0_sel:WORD_1 src1_sel:DWORD
	;; [unrolled: 1-line block ×4, first 2 shown]
	v_fma_f16 v47, v32, v47, v55
	v_fma_f16 v12, v31, v12, -v52
	v_fma_f16 v9, v32, v9, -v54
	v_mul_f16_sdwa v56, v33, v48 dst_sel:DWORD dst_unused:UNUSED_PAD src0_sel:WORD_1 src1_sel:DWORD
	v_mul_f16_sdwa v57, v33, v13 dst_sel:DWORD dst_unused:UNUSED_PAD src0_sel:WORD_1 src1_sel:DWORD
	;; [unrolled: 1-line block ×3, first 2 shown]
	v_fma_f16 v46, v31, v46, v53
	v_mul_f16_sdwa v59, v34, v10 dst_sel:DWORD dst_unused:UNUSED_PAD src0_sel:WORD_1 src1_sel:DWORD
	v_fma_f16 v13, v33, v13, -v56
	v_fma_f16 v33, v33, v48, v57
	v_mul_f16_sdwa v32, v15, v37 dst_sel:DWORD dst_unused:UNUSED_PAD src0_sel:DWORD src1_sel:WORD_1
	v_mul_f16_sdwa v31, v18, v37 dst_sel:DWORD dst_unused:UNUSED_PAD src0_sel:DWORD src1_sel:WORD_1
	;; [unrolled: 1-line block ×4, first 2 shown]
	v_fma_f16 v18, v18, v37, v32
	v_add_f16_e32 v32, v12, v9
	v_fma_f16 v10, v34, v10, -v58
	v_fma_f16 v15, v15, v37, -v31
	;; [unrolled: 1-line block ×3, first 2 shown]
	v_fma_f16 v14, v14, v38, v54
	v_add_f16_e32 v31, v20, v12
	v_sub_f16_e32 v37, v46, v47
	v_add_f16_e32 v38, v22, v46
	v_fma_f16 v20, v32, -0.5, v20
	v_fma_f16 v34, v34, v49, v59
	v_sub_f16_e32 v12, v12, v9
	v_add_f16_e32 v49, v13, v10
	v_add_f16_e32 v9, v31, v9
	;; [unrolled: 1-line block ×3, first 2 shown]
	v_fma_f16 v38, v37, s2, v20
	v_fma_f16 v37, v37, s3, v20
	v_add_f16_e32 v20, v23, v33
	v_mul_f16_sdwa v60, v35, v50 dst_sel:DWORD dst_unused:UNUSED_PAD src0_sel:WORD_1 src1_sel:DWORD
	v_add_f16_e32 v48, v21, v13
	v_fma_f16 v21, v49, -0.5, v21
	v_add_f16_e32 v49, v20, v34
	v_add_f16_e32 v20, v33, v34
	v_mul_f16_sdwa v61, v35, v8 dst_sel:DWORD dst_unused:UNUSED_PAD src0_sel:WORD_1 src1_sel:DWORD
	v_mul_f16_sdwa v53, v36, v51 dst_sel:DWORD dst_unused:UNUSED_PAD src0_sel:WORD_1 src1_sel:DWORD
	v_fma_f16 v8, v35, v8, -v60
	v_add_f16_e32 v32, v48, v10
	v_fma_f16 v20, v20, -0.5, v23
	v_sub_f16_e32 v10, v13, v10
	v_mul_f16_sdwa v55, v36, v11 dst_sel:DWORD dst_unused:UNUSED_PAD src0_sel:WORD_1 src1_sel:DWORD
	v_fma_f16 v11, v36, v11, -v53
	v_fma_f16 v13, v10, s3, v20
	v_fma_f16 v10, v10, s2, v20
	v_add_f16_e32 v20, v19, v8
	v_fma_f16 v35, v35, v50, v61
	v_fma_f16 v36, v36, v51, v55
	v_add_f16_e32 v46, v46, v47
	v_sub_f16_e32 v50, v33, v34
	v_add_f16_e32 v33, v20, v11
	v_add_f16_e32 v20, v8, v11
	v_fma_f16 v22, v46, -0.5, v22
	v_fma_f16 v47, v50, s2, v21
	v_fma_f16 v48, v50, s3, v21
	v_fma_f16 v19, v20, -0.5, v19
	v_sub_f16_e32 v20, v35, v36
	v_add_f16_e32 v21, v15, v24
	v_fma_f16 v46, v12, s3, v22
	v_fma_f16 v12, v12, s2, v22
	;; [unrolled: 1-line block ×4, first 2 shown]
	v_add_f16_e32 v20, v45, v35
	v_fma_f16 v21, v21, -0.5, v25
	v_sub_f16_e32 v22, v18, v14
	v_add_f16_e32 v50, v20, v36
	v_add_f16_e32 v20, v35, v36
	v_fma_f16 v23, v22, s2, v21
	v_fma_f16 v21, v22, s3, v21
	v_add_f16_e32 v22, v26, v18
	v_fma_f16 v20, v20, -0.5, v45
	v_sub_f16_e32 v8, v8, v11
	v_add_f16_e32 v22, v22, v14
	v_add_f16_e32 v14, v18, v14
	v_fma_f16 v11, v8, s3, v20
	v_fma_f16 v8, v8, s2, v20
	v_add_f16_e32 v20, v25, v15
	v_fma_f16 v14, v14, -0.5, v26
	v_sub_f16_e32 v15, v15, v24
	v_add_f16_e32 v20, v20, v24
	v_fma_f16 v25, v15, s3, v14
	v_fma_f16 v24, v15, s2, v14
	v_mul_u32_u24_e32 v14, 0x168, v39
	v_lshlrev_b32_sdwa v15, v27, v40 dst_sel:DWORD dst_unused:UNUSED_PAD src0_sel:DWORD src1_sel:BYTE_0
	v_add3_u32 v14, 0, v14, v15
	v_pack_b32_f16 v9, v9, v31
	v_pack_b32_f16 v15, v38, v46
	ds_write2_b32 v14, v9, v15 offset1:30
	v_pack_b32_f16 v9, v37, v12
	ds_write_b32 v14, v9 offset:240
	v_mul_u32_u24_e32 v9, 0x168, v41
	v_lshlrev_b32_sdwa v12, v27, v42 dst_sel:DWORD dst_unused:UNUSED_PAD src0_sel:DWORD src1_sel:BYTE_0
	v_add3_u32 v9, 0, v9, v12
	v_pack_b32_f16 v12, v32, v49
	v_pack_b32_f16 v13, v47, v13
	;; [unrolled: 1-line block ×3, first 2 shown]
	ds_write2_b32 v9, v12, v13 offset1:30
	ds_write_b32 v9, v10 offset:240
	v_mul_u32_u24_e32 v9, 0x168, v43
	v_lshlrev_b32_sdwa v10, v27, v44 dst_sel:DWORD dst_unused:UNUSED_PAD src0_sel:DWORD src1_sel:BYTE_0
	v_add3_u32 v9, 0, v9, v10
	v_pack_b32_f16 v10, v33, v50
	v_pack_b32_f16 v11, v34, v11
	;; [unrolled: 1-line block ×3, first 2 shown]
	ds_write2_b32 v9, v10, v11 offset1:30
	ds_write_b32 v9, v8 offset:240
	s_and_saveexec_b64 s[2:3], s[0:1]
	s_cbranch_execz .LBB0_19
; %bb.18:
	v_lshl_add_u32 v8, v30, 2, 0
	s_mov_b32 s4, 0x5040100
	v_perm_b32 v9, v22, v20, s4
	v_perm_b32 v10, v25, v23, s4
	v_add_u32_e32 v11, 0x800, v8
	ds_write2_b32 v11, v9, v10 offset0:208 offset1:238
	v_perm_b32 v9, v24, v21, s4
	ds_write_b32 v8, v9 offset:3120
.LBB0_19:
	s_or_b64 exec, exec, s[2:3]
	v_add_u32_e32 v8, 0x400, v16
	s_waitcnt lgkmcnt(0)
	s_barrier
	ds_read2_b32 v[14:15], v8 offset0:14 offset1:95
	v_add_u32_e32 v8, 0x600, v16
	ds_read2_b32 v[10:11], v8 offset0:48 offset1:156
	v_add_u32_e32 v19, v5, v29
	v_add_u32_e32 v8, 0x800, v16
	ds_read_b32 v5, v19
	ds_read2_b32 v[12:13], v8 offset0:109 offset1:190
	v_add_u32_e32 v18, v1, v28
	ds_read_b32 v26, v16
	ds_read_b32 v1, v18
	s_and_saveexec_b64 s[2:3], s[0:1]
	s_cbranch_execz .LBB0_21
; %bb.20:
	ds_read_b32 v20, v17
	ds_read_b32 v21, v16 offset:3132
	ds_read_b32 v23, v16 offset:2052
	s_waitcnt lgkmcnt(2)
	v_lshrrev_b32_e32 v22, 16, v20
	s_waitcnt lgkmcnt(1)
	v_lshrrev_b32_e32 v24, 16, v21
	;; [unrolled: 2-line block ×3, first 2 shown]
.LBB0_21:
	s_or_b64 exec, exec, s[2:3]
	v_lshlrev_b32_e32 v27, 1, v0
	v_mov_b32_e32 v28, 0
	v_lshlrev_b64 v[8:9], 2, v[27:28]
	v_mov_b32_e32 v29, s9
	v_add_co_u32_e64 v8, s[2:3], s8, v8
	v_addc_co_u32_e64 v9, s[2:3], v29, v9, s[2:3]
	v_add_u32_e32 v27, -9, v0
	v_cmp_gt_u32_e64 s[2:3], 9, v0
	v_cndmask_b32_e64 v37, v27, v4, s[2:3]
	v_lshlrev_b32_e32 v27, 1, v37
	v_lshlrev_b64 v[27:28], 2, v[27:28]
	s_waitcnt lgkmcnt(5)
	v_lshrrev_b32_e32 v42, 16, v14
	v_add_co_u32_e64 v27, s[2:3], s8, v27
	v_addc_co_u32_e64 v28, s[2:3], v29, v28, s[2:3]
	s_movk_i32 s2, 0xb7
	v_mul_lo_u16_sdwa v31, v7, s2 dst_sel:DWORD dst_unused:UNUSED_PAD src0_sel:BYTE_0 src1_sel:DWORD
	v_lshrrev_b16_e32 v38, 14, v31
	v_mul_lo_u16_e32 v31, 0x5a, v38
	v_sub_u16_e32 v39, v7, v31
	v_mov_b32_e32 v31, 3
	s_movk_i32 s2, 0x2d83
	global_load_dwordx2 v[29:30], v[8:9], off offset:348
	v_lshlrev_b32_sdwa v33, v31, v39 dst_sel:DWORD dst_unused:UNUSED_PAD src0_sel:DWORD src1_sel:BYTE_0
	global_load_dwordx2 v[31:32], v[27:28], off offset:348
	v_mul_u32_u24_sdwa v27, v6, s2 dst_sel:DWORD dst_unused:UNUSED_PAD src0_sel:WORD_0 src1_sel:DWORD
	v_lshrrev_b32_e32 v27, 20, v27
	v_mul_lo_u16_e32 v27, 0x5a, v27
	v_sub_u16_e32 v27, v6, v27
	v_lshlrev_b32_e32 v28, 3, v27
	global_load_dwordx2 v[33:34], v33, s[8:9] offset:348
	s_waitcnt lgkmcnt(4)
	v_lshrrev_b32_e32 v43, 16, v11
	global_load_dwordx2 v[35:36], v28, s[8:9] offset:348
	v_lshrrev_b32_e32 v44, 16, v15
	s_waitcnt lgkmcnt(1)
	v_lshrrev_b32_e32 v28, 16, v26
	v_lshrrev_b32_e32 v45, 16, v12
	s_movk_i32 s2, 0x3aee
	s_mov_b32 s3, 0xbaee
	v_lshrrev_b32_e32 v40, 16, v5
	v_lshrrev_b32_e32 v46, 16, v10
	v_lshrrev_b32_e32 v47, 16, v13
	s_waitcnt lgkmcnt(0)
	v_lshrrev_b32_e32 v41, 16, v1
	s_waitcnt vmcnt(0)
	s_barrier
	v_mul_f16_sdwa v48, v29, v42 dst_sel:DWORD dst_unused:UNUSED_PAD src0_sel:WORD_1 src1_sel:DWORD
	v_mul_f16_sdwa v49, v29, v14 dst_sel:DWORD dst_unused:UNUSED_PAD src0_sel:WORD_1 src1_sel:DWORD
	;; [unrolled: 1-line block ×4, first 2 shown]
	v_fma_f16 v14, v29, v14, -v48
	v_fma_f16 v29, v29, v42, v49
	v_fma_f16 v11, v30, v11, -v50
	v_mul_f16_sdwa v42, v31, v44 dst_sel:DWORD dst_unused:UNUSED_PAD src0_sel:WORD_1 src1_sel:DWORD
	v_fma_f16 v30, v30, v43, v51
	v_mul_f16_sdwa v43, v31, v15 dst_sel:DWORD dst_unused:UNUSED_PAD src0_sel:WORD_1 src1_sel:DWORD
	v_mul_f16_sdwa v54, v25, v35 dst_sel:DWORD dst_unused:UNUSED_PAD src0_sel:DWORD src1_sel:WORD_1
	v_mul_f16_sdwa v55, v23, v35 dst_sel:DWORD dst_unused:UNUSED_PAD src0_sel:DWORD src1_sel:WORD_1
	;; [unrolled: 1-line block ×3, first 2 shown]
	v_fma_f16 v15, v31, v15, -v42
	v_add_f16_e32 v42, v14, v11
	v_mul_f16_sdwa v48, v32, v45 dst_sel:DWORD dst_unused:UNUSED_PAD src0_sel:WORD_1 src1_sel:DWORD
	v_mul_f16_sdwa v57, v21, v36 dst_sel:DWORD dst_unused:UNUSED_PAD src0_sel:DWORD src1_sel:WORD_1
	v_sub_f16_e32 v59, v29, v30
	v_fma_f16 v31, v31, v44, v43
	v_add_f16_e32 v43, v28, v29
	v_add_f16_e32 v29, v29, v30
	v_fma_f16 v23, v23, v35, -v54
	v_fma_f16 v25, v25, v35, v55
	v_fma_f16 v35, v21, v36, -v56
	v_fma_f16 v21, v42, -0.5, v26
	v_mul_f16_sdwa v49, v32, v12 dst_sel:DWORD dst_unused:UNUSED_PAD src0_sel:WORD_1 src1_sel:DWORD
	v_add_f16_e32 v58, v26, v14
	v_sub_f16_e32 v14, v14, v11
	v_fma_f16 v12, v32, v12, -v48
	v_add_f16_e32 v26, v43, v30
	v_fma_f16 v28, v29, -0.5, v28
	v_fma_f16 v29, v59, s2, v21
	v_fma_f16 v30, v59, s3, v21
	v_add_f16_e32 v21, v5, v15
	v_fma_f16 v32, v32, v45, v49
	v_fma_f16 v24, v24, v36, v57
	;; [unrolled: 1-line block ×4, first 2 shown]
	v_add_f16_e32 v28, v21, v12
	v_add_f16_e32 v21, v15, v12
	v_fma_f16 v5, v21, -0.5, v5
	v_sub_f16_e32 v21, v31, v32
	v_fma_f16 v42, v21, s2, v5
	v_fma_f16 v43, v21, s3, v5
	v_add_f16_e32 v5, v40, v31
	v_mul_f16_sdwa v50, v33, v46 dst_sel:DWORD dst_unused:UNUSED_PAD src0_sel:WORD_1 src1_sel:DWORD
	v_add_f16_e32 v44, v5, v32
	v_add_f16_e32 v5, v31, v32
	v_mul_f16_sdwa v51, v33, v10 dst_sel:DWORD dst_unused:UNUSED_PAD src0_sel:WORD_1 src1_sel:DWORD
	v_mul_f16_sdwa v52, v34, v47 dst_sel:DWORD dst_unused:UNUSED_PAD src0_sel:WORD_1 src1_sel:DWORD
	v_fma_f16 v10, v33, v10, -v50
	v_fma_f16 v5, v5, -0.5, v40
	v_sub_f16_e32 v12, v15, v12
	v_mul_f16_sdwa v53, v34, v13 dst_sel:DWORD dst_unused:UNUSED_PAD src0_sel:WORD_1 src1_sel:DWORD
	v_fma_f16 v13, v34, v13, -v52
	v_fma_f16 v15, v12, s3, v5
	v_fma_f16 v12, v12, s2, v5
	v_add_f16_e32 v5, v1, v10
	v_fma_f16 v33, v33, v46, v51
	v_fma_f16 v34, v34, v47, v53
	v_add_f16_e32 v31, v5, v13
	v_add_f16_e32 v5, v10, v13
	v_fma_f16 v1, v5, -0.5, v1
	v_sub_f16_e32 v5, v33, v34
	v_fma_f16 v32, v5, s2, v1
	v_fma_f16 v40, v5, s3, v1
	v_add_f16_e32 v1, v41, v33
	v_add_f16_e32 v45, v1, v34
	;; [unrolled: 1-line block ×3, first 2 shown]
	v_fma_f16 v1, v1, -0.5, v41
	v_sub_f16_e32 v5, v10, v13
	v_fma_f16 v10, v5, s3, v1
	v_fma_f16 v13, v5, s2, v1
	v_add_f16_e32 v5, v23, v35
	v_add_f16_e32 v1, v20, v23
	v_fma_f16 v5, v5, -0.5, v20
	v_sub_f16_e32 v20, v25, v24
	v_fma_f16 v21, v20, s2, v5
	v_fma_f16 v20, v20, s3, v5
	v_add_f16_e32 v5, v22, v25
	v_add_f16_e32 v5, v5, v24
	;; [unrolled: 1-line block ×4, first 2 shown]
	v_fma_f16 v22, v24, -0.5, v22
	v_sub_f16_e32 v24, v23, v35
	v_fma_f16 v23, v24, s3, v22
	v_fma_f16 v22, v24, s2, v22
	v_pack_b32_f16 v11, v11, v26
	v_pack_b32_f16 v24, v29, v36
	ds_write2_b32 v16, v11, v24 offset1:90
	v_pack_b32_f16 v11, v30, v14
	ds_write_b32 v16, v11 offset:720
	v_mov_b32_e32 v11, 0x438
	v_cmp_lt_u32_e64 s[2:3], 8, v0
	v_cndmask_b32_e64 v11, 0, v11, s[2:3]
	v_lshlrev_b32_e32 v14, 2, v37
	v_add3_u32 v11, 0, v11, v14
	v_pack_b32_f16 v12, v43, v12
	v_pack_b32_f16 v14, v28, v44
	;; [unrolled: 1-line block ×3, first 2 shown]
	ds_write_b32 v11, v12 offset:720
	v_mov_b32_e32 v12, 2
	ds_write2_b32 v11, v14, v15 offset1:90
	v_mul_u32_u24_e32 v11, 0x438, v38
	v_lshlrev_b32_sdwa v12, v12, v39 dst_sel:DWORD dst_unused:UNUSED_PAD src0_sel:DWORD src1_sel:BYTE_0
	v_add3_u32 v11, 0, v11, v12
	v_pack_b32_f16 v12, v31, v45
	v_pack_b32_f16 v10, v32, v10
	v_add_f16_e32 v1, v1, v35
	ds_write2_b32 v11, v12, v10 offset1:90
	v_pack_b32_f16 v10, v40, v13
	ds_write_b32 v11, v10 offset:720
	s_and_saveexec_b64 s[2:3], s[0:1]
	s_cbranch_execz .LBB0_23
; %bb.22:
	v_lshl_add_u32 v10, v27, 2, 0
	s_mov_b32 s4, 0x5040100
	v_perm_b32 v11, v5, v1, s4
	v_perm_b32 v12, v23, v21, s4
	v_add_u32_e32 v13, 0x800, v10
	ds_write2_b32 v13, v11, v12 offset0:28 offset1:118
	v_perm_b32 v11, v22, v20, s4
	ds_write_b32 v10, v11 offset:2880
.LBB0_23:
	s_or_b64 exec, exec, s[2:3]
	v_add_u32_e32 v10, 0x400, v16
	s_waitcnt lgkmcnt(0)
	s_barrier
	ds_read2_b32 v[14:15], v10 offset0:14 offset1:95
	v_add_u32_e32 v10, 0x600, v16
	v_add_u32_e32 v12, 0x800, v16
	ds_read2_b32 v[10:11], v10 offset0:48 offset1:156
	ds_read_b32 v25, v19
	ds_read2_b32 v[12:13], v12 offset0:109 offset1:190
	ds_read_b32 v26, v16
	ds_read_b32 v24, v18
	s_and_saveexec_b64 s[2:3], s[0:1]
	s_cbranch_execz .LBB0_25
; %bb.24:
	ds_read_b32 v1, v17
	ds_read_b32 v20, v16 offset:3132
	ds_read_b32 v21, v16 offset:2052
	s_waitcnt lgkmcnt(2)
	v_lshrrev_b32_e32 v5, 16, v1
	s_waitcnt lgkmcnt(1)
	v_lshrrev_b32_e32 v22, 16, v20
	s_waitcnt lgkmcnt(0)
	v_lshrrev_b32_e32 v23, 16, v21
.LBB0_25:
	s_or_b64 exec, exec, s[2:3]
	global_load_dwordx2 v[27:28], v[8:9], off offset:1068
	v_lshlrev_b32_e32 v8, 1, v4
	v_mov_b32_e32 v9, 0
	v_lshlrev_b64 v[29:30], 2, v[8:9]
	v_lshlrev_b32_e32 v8, 1, v7
	v_mov_b32_e32 v33, s9
	v_add_co_u32_e64 v29, s[2:3], s8, v29
	v_lshlrev_b64 v[31:32], 2, v[8:9]
	v_addc_co_u32_e64 v30, s[2:3], v33, v30, s[2:3]
	v_add_co_u32_e64 v31, s[2:3], s8, v31
	global_load_dwordx2 v[29:30], v[29:30], off offset:1068
	v_addc_co_u32_e64 v32, s[2:3], v33, v32, s[2:3]
	global_load_dwordx2 v[31:32], v[31:32], off offset:1068
	s_waitcnt lgkmcnt(4)
	v_lshrrev_b32_e32 v39, 16, v11
	v_lshrrev_b32_e32 v40, 16, v14
	s_waitcnt lgkmcnt(1)
	v_lshrrev_b32_e32 v8, 16, v26
	v_lshrrev_b32_e32 v37, 16, v12
	;; [unrolled: 1-line block ×5, first 2 shown]
	s_movk_i32 s4, 0x3aee
	s_mov_b32 s5, 0xbaee
	v_lshrrev_b32_e32 v33, 16, v25
	s_waitcnt lgkmcnt(0)
	v_lshrrev_b32_e32 v34, 16, v24
	s_waitcnt vmcnt(0)
	s_barrier
	v_mul_f16_sdwa v41, v27, v40 dst_sel:DWORD dst_unused:UNUSED_PAD src0_sel:WORD_1 src1_sel:DWORD
	v_mul_f16_sdwa v42, v27, v14 dst_sel:DWORD dst_unused:UNUSED_PAD src0_sel:WORD_1 src1_sel:DWORD
	;; [unrolled: 1-line block ×4, first 2 shown]
	v_fma_f16 v14, v27, v14, -v41
	v_fma_f16 v27, v27, v40, v42
	v_fma_f16 v11, v28, v11, -v43
	v_fma_f16 v28, v28, v39, v44
	v_add_f16_e32 v39, v26, v14
	v_add_f16_e32 v40, v14, v11
	v_sub_f16_e32 v41, v27, v28
	v_add_f16_e32 v42, v8, v27
	v_add_f16_e32 v27, v27, v28
	v_sub_f16_e32 v14, v14, v11
	v_add_f16_e32 v11, v39, v11
	v_fma_f16 v26, v40, -0.5, v26
	v_add_f16_e32 v28, v42, v28
	v_fma_f16 v8, v27, -0.5, v8
	v_mul_f16_sdwa v27, v29, v38 dst_sel:DWORD dst_unused:UNUSED_PAD src0_sel:WORD_1 src1_sel:DWORD
	v_mul_f16_sdwa v39, v29, v15 dst_sel:DWORD dst_unused:UNUSED_PAD src0_sel:WORD_1 src1_sel:DWORD
	;; [unrolled: 1-line block ×4, first 2 shown]
	v_fma_f16 v43, v41, s4, v26
	v_fma_f16 v26, v41, s5, v26
	v_fma_f16 v41, v14, s5, v8
	v_fma_f16 v8, v14, s4, v8
	v_fma_f16 v14, v29, v15, -v27
	v_fma_f16 v15, v29, v38, v39
	v_fma_f16 v12, v30, v12, -v40
	v_fma_f16 v27, v30, v37, v42
	v_mul_f16_sdwa v29, v31, v36 dst_sel:DWORD dst_unused:UNUSED_PAD src0_sel:WORD_1 src1_sel:DWORD
	v_mul_f16_sdwa v30, v31, v10 dst_sel:DWORD dst_unused:UNUSED_PAD src0_sel:WORD_1 src1_sel:DWORD
	;; [unrolled: 1-line block ×4, first 2 shown]
	v_fma_f16 v10, v31, v10, -v29
	v_fma_f16 v29, v31, v36, v30
	v_fma_f16 v13, v32, v13, -v37
	v_fma_f16 v30, v32, v35, v38
	v_add_f16_e32 v31, v25, v14
	v_add_f16_e32 v32, v14, v12
	v_sub_f16_e32 v35, v15, v27
	v_add_f16_e32 v36, v33, v15
	v_add_f16_e32 v15, v15, v27
	v_sub_f16_e32 v14, v14, v12
	v_add_f16_e32 v12, v31, v12
	v_fma_f16 v25, v32, -0.5, v25
	v_add_f16_e32 v27, v36, v27
	v_fma_f16 v15, v15, -0.5, v33
	v_pack_b32_f16 v11, v11, v28
	v_pack_b32_f16 v8, v26, v8
	v_fma_f16 v37, v35, s4, v25
	v_fma_f16 v25, v35, s5, v25
	;; [unrolled: 1-line block ×3, first 2 shown]
	ds_write_b32 v16, v11
	v_pack_b32_f16 v11, v43, v41
	ds_write_b32 v16, v8 offset:2160
	v_pack_b32_f16 v8, v12, v27
	v_add_f16_e32 v31, v24, v10
	v_add_f16_e32 v32, v10, v13
	v_sub_f16_e32 v33, v29, v30
	v_add_f16_e32 v36, v34, v29
	v_add_f16_e32 v29, v29, v30
	v_fma_f16 v14, v14, s4, v15
	ds_write_b32 v16, v11 offset:1080
	ds_write_b32 v19, v8
	v_pack_b32_f16 v8, v37, v35
	v_add_f16_e32 v15, v31, v13
	v_fma_f16 v24, v32, -0.5, v24
	v_add_f16_e32 v30, v36, v30
	v_fma_f16 v29, v29, -0.5, v34
	v_sub_f16_e32 v10, v10, v13
	ds_write_b32 v19, v8 offset:1080
	v_pack_b32_f16 v8, v25, v14
	v_fma_f16 v31, v33, s4, v24
	v_fma_f16 v13, v10, s5, v29
	ds_write_b32 v19, v8 offset:2160
	v_pack_b32_f16 v8, v15, v30
	v_fma_f16 v24, v33, s5, v24
	v_fma_f16 v10, v10, s4, v29
	ds_write_b32 v18, v8
	v_pack_b32_f16 v8, v31, v13
	ds_write_b32 v18, v8 offset:1080
	v_pack_b32_f16 v8, v24, v10
	ds_write_b32 v18, v8 offset:2160
	s_and_saveexec_b64 s[2:3], s[0:1]
	s_cbranch_execz .LBB0_27
; %bb.26:
	v_subrev_u32_e32 v8, 27, v0
	v_cndmask_b32_e64 v8, v8, v6, s[0:1]
	v_lshlrev_b32_e32 v8, 1, v8
	v_lshlrev_b64 v[8:9], 2, v[8:9]
	v_mov_b32_e32 v10, s9
	v_add_co_u32_e64 v8, s[0:1], s8, v8
	v_addc_co_u32_e64 v9, s[0:1], v10, v9, s[0:1]
	global_load_dwordx2 v[8:9], v[8:9], off offset:1068
	s_waitcnt vmcnt(0)
	v_mul_f16_sdwa v10, v23, v8 dst_sel:DWORD dst_unused:UNUSED_PAD src0_sel:DWORD src1_sel:WORD_1
	v_mul_f16_sdwa v11, v22, v9 dst_sel:DWORD dst_unused:UNUSED_PAD src0_sel:DWORD src1_sel:WORD_1
	;; [unrolled: 1-line block ×4, first 2 shown]
	v_fma_f16 v10, v21, v8, -v10
	v_fma_f16 v11, v20, v9, -v11
	v_fma_f16 v8, v23, v8, v12
	v_fma_f16 v9, v22, v9, v13
	v_add_f16_e32 v13, v8, v9
	v_add_f16_e32 v15, v10, v11
	v_sub_f16_e32 v12, v10, v11
	v_add_f16_e32 v14, v5, v8
	v_sub_f16_e32 v8, v8, v9
	v_add_f16_e32 v10, v1, v10
	v_fma_f16 v5, v13, -0.5, v5
	v_fma_f16 v1, v15, -0.5, v1
	v_add_f16_e32 v9, v14, v9
	v_add_f16_e32 v10, v10, v11
	v_fma_f16 v11, v12, s4, v5
	v_fma_f16 v5, v12, s5, v5
	;; [unrolled: 1-line block ×4, first 2 shown]
	v_pack_b32_f16 v8, v10, v9
	v_pack_b32_f16 v1, v1, v5
	ds_write_b32 v16, v8 offset:972
	v_pack_b32_f16 v5, v12, v11
	ds_write_b32 v16, v1 offset:2052
	ds_write_b32 v16, v5 offset:3132
.LBB0_27:
	s_or_b64 exec, exec, s[2:3]
	s_waitcnt lgkmcnt(0)
	s_barrier
	ds_read_b32 v5, v16
	v_lshlrev_b32_e32 v1, 2, v0
	v_sub_u32_e32 v11, 0, v1
	v_cmp_ne_u32_e64 s[0:1], 0, v0
                                        ; implicit-def: $vgpr14
                                        ; implicit-def: $vgpr12
                                        ; implicit-def: $vgpr13
                                        ; implicit-def: $vgpr9_vgpr10
	s_and_saveexec_b64 s[2:3], s[0:1]
	s_xor_b64 s[2:3], exec, s[2:3]
	s_cbranch_execz .LBB0_29
; %bb.28:
	v_mov_b32_e32 v1, 0
	v_lshlrev_b64 v[8:9], 2, v[0:1]
	v_mov_b32_e32 v10, s9
	v_add_co_u32_e64 v8, s[0:1], s8, v8
	v_addc_co_u32_e64 v9, s[0:1], v10, v9, s[0:1]
	global_load_dword v8, v[8:9], off offset:3228
	ds_read_b32 v9, v11 offset:3240
	s_mov_b32 s0, 0xffff
	s_waitcnt lgkmcnt(0)
	v_pk_add_f16 v10, v5, v9 neg_lo:[0,1] neg_hi:[0,1]
	v_pk_add_f16 v5, v9, v5
	v_bfi_b32 v9, s0, v10, v5
	v_bfi_b32 v5, s0, v5, v10
	v_pk_mul_f16 v9, v9, 0.5 op_sel_hi:[1,0]
	v_pk_mul_f16 v10, v5, 0.5 op_sel_hi:[1,0]
	s_waitcnt vmcnt(0)
	v_pk_mul_f16 v12, v8, v9 op_sel:[1,0]
	v_pk_mul_f16 v8, v8, v9 op_sel_hi:[0,1]
	v_pk_fma_f16 v5, v5, 0.5, v12 op_sel_hi:[1,0,1]
	v_sub_f16_e32 v9, v10, v12
	v_sub_f16_sdwa v10, v12, v10 dst_sel:DWORD dst_unused:UNUSED_PAD src0_sel:WORD_1 src1_sel:WORD_1
	v_pk_add_f16 v14, v5, v8 op_sel:[0,1] op_sel_hi:[1,0]
	v_pk_add_f16 v5, v5, v8 op_sel:[0,1] op_sel_hi:[1,0] neg_lo:[0,1] neg_hi:[0,1]
	v_sub_f16_sdwa v12, v9, v8 dst_sel:DWORD dst_unused:UNUSED_PAD src0_sel:DWORD src1_sel:WORD_1
	v_sub_f16_e32 v13, v10, v8
	v_mov_b32_e32 v10, v1
	v_bfi_b32 v14, s0, v14, v5
	v_mov_b32_e32 v9, v0
                                        ; implicit-def: $vgpr5
.LBB0_29:
	s_andn2_saveexec_b64 s[0:1], s[2:3]
	s_cbranch_execz .LBB0_31
; %bb.30:
	v_mov_b32_e32 v13, 0
	ds_read_u16 v1, v13 offset:1622
	s_waitcnt lgkmcnt(1)
	v_alignbit_b32 v8, s0, v5, 16
	v_sub_f16_sdwa v12, v5, v5 dst_sel:DWORD dst_unused:UNUSED_PAD src0_sel:DWORD src1_sel:WORD_1
	v_mov_b32_e32 v9, 0
	v_pk_add_f16 v5, v8, v5
	v_mov_b32_e32 v10, 0
	s_waitcnt lgkmcnt(0)
	v_xor_b32_e32 v1, 0x8000, v1
	v_pack_b32_f16 v14, v5, 0
	ds_write_b16 v13, v1 offset:1622
.LBB0_31:
	s_or_b64 exec, exec, s[0:1]
	s_waitcnt lgkmcnt(0)
	v_mov_b32_e32 v5, 0
	v_lshlrev_b64 v[20:21], 2, v[4:5]
	v_mov_b32_e32 v1, s9
	v_add_co_u32_e64 v20, s[0:1], s8, v20
	v_addc_co_u32_e64 v21, s[0:1], v1, v21, s[0:1]
	global_load_dword v1, v[20:21], off offset:3228
	v_mov_b32_e32 v8, v5
	v_lshlrev_b64 v[7:8], 2, v[7:8]
	v_mov_b32_e32 v4, s9
	v_add_co_u32_e64 v7, s[0:1], s8, v7
	v_addc_co_u32_e64 v8, s[0:1], v4, v8, s[0:1]
	global_load_dword v8, v[7:8], off offset:3228
	;; [unrolled: 6-line block ×3, first 2 shown]
	s_add_u32 s0, s8, 0xc9c
	v_lshlrev_b64 v[4:5], 2, v[9:10]
	s_addc_u32 s1, s9, 0
	v_mov_b32_e32 v7, s1
	v_add_co_u32_e64 v6, s[0:1], s0, v4
	ds_write_b16 v11, v13 offset:3242
	ds_write_b32 v16, v14
	ds_write_b16 v11, v12 offset:3240
	v_addc_co_u32_e64 v7, s[0:1], v7, v5, s[0:1]
	ds_read_b32 v9, v19
	ds_read_b32 v10, v11 offset:2916
	global_load_dword v6, v[6:7], off offset:1296
	s_mov_b32 s0, 0xffff
	s_waitcnt lgkmcnt(0)
	v_pk_add_f16 v7, v9, v10 neg_lo:[0,1] neg_hi:[0,1]
	v_pk_add_f16 v9, v9, v10
	v_bfi_b32 v10, s0, v7, v9
	v_bfi_b32 v7, s0, v9, v7
	v_pk_mul_f16 v9, v10, 0.5 op_sel_hi:[1,0]
	v_pk_mul_f16 v7, v7, 0.5 op_sel_hi:[1,0]
	s_waitcnt vmcnt(3)
	v_pk_fma_f16 v10, v1, v9, v7 op_sel:[1,0,0]
	v_pk_mul_f16 v12, v1, v9 op_sel_hi:[0,1]
	v_pk_fma_f16 v13, v1, v9, v7 op_sel:[1,0,0] neg_lo:[1,0,0] neg_hi:[1,0,0]
	v_pk_fma_f16 v1, v1, v9, v7 op_sel:[1,0,0] neg_lo:[0,0,1] neg_hi:[0,0,1]
	v_pk_add_f16 v7, v10, v12 op_sel:[0,1] op_sel_hi:[1,0]
	v_pk_add_f16 v9, v10, v12 op_sel:[0,1] op_sel_hi:[1,0] neg_lo:[0,1] neg_hi:[0,1]
	v_pk_add_f16 v10, v13, v12 op_sel:[0,1] op_sel_hi:[1,0] neg_lo:[0,1] neg_hi:[0,1]
	v_pk_add_f16 v1, v1, v12 op_sel:[0,1] op_sel_hi:[1,0] neg_lo:[0,1] neg_hi:[0,1]
	v_bfi_b32 v7, s0, v7, v9
	v_bfi_b32 v1, s0, v10, v1
	ds_write_b32 v19, v7
	ds_write_b32 v11, v1 offset:2916
	ds_read_b32 v1, v18
	ds_read_b32 v7, v11 offset:2592
	s_waitcnt lgkmcnt(0)
	v_pk_add_f16 v9, v1, v7 neg_lo:[0,1] neg_hi:[0,1]
	v_pk_add_f16 v1, v1, v7
	v_bfi_b32 v7, s0, v9, v1
	v_bfi_b32 v1, s0, v1, v9
	v_pk_mul_f16 v7, v7, 0.5 op_sel_hi:[1,0]
	v_pk_mul_f16 v1, v1, 0.5 op_sel_hi:[1,0]
	s_waitcnt vmcnt(2)
	v_pk_fma_f16 v9, v8, v7, v1 op_sel:[1,0,0]
	v_pk_mul_f16 v10, v8, v7 op_sel_hi:[0,1]
	v_pk_fma_f16 v12, v8, v7, v1 op_sel:[1,0,0] neg_lo:[1,0,0] neg_hi:[1,0,0]
	v_pk_fma_f16 v1, v8, v7, v1 op_sel:[1,0,0] neg_lo:[0,0,1] neg_hi:[0,0,1]
	v_pk_add_f16 v7, v9, v10 op_sel:[0,1] op_sel_hi:[1,0]
	v_pk_add_f16 v8, v9, v10 op_sel:[0,1] op_sel_hi:[1,0] neg_lo:[0,1] neg_hi:[0,1]
	v_pk_add_f16 v9, v12, v10 op_sel:[0,1] op_sel_hi:[1,0] neg_lo:[0,1] neg_hi:[0,1]
	;; [unrolled: 1-line block ×3, first 2 shown]
	v_bfi_b32 v7, s0, v7, v8
	v_bfi_b32 v1, s0, v9, v1
	ds_write_b32 v18, v7
	ds_write_b32 v11, v1 offset:2592
	ds_read_b32 v1, v17
	ds_read_b32 v7, v11 offset:2268
	s_waitcnt lgkmcnt(0)
	v_pk_add_f16 v8, v1, v7 neg_lo:[0,1] neg_hi:[0,1]
	v_pk_add_f16 v1, v1, v7
	v_bfi_b32 v7, s0, v8, v1
	v_bfi_b32 v1, s0, v1, v8
	v_pk_mul_f16 v7, v7, 0.5 op_sel_hi:[1,0]
	v_pk_mul_f16 v1, v1, 0.5 op_sel_hi:[1,0]
	s_waitcnt vmcnt(1)
	v_pk_fma_f16 v8, v15, v7, v1 op_sel:[1,0,0]
	v_pk_mul_f16 v9, v15, v7 op_sel_hi:[0,1]
	v_pk_fma_f16 v10, v15, v7, v1 op_sel:[1,0,0] neg_lo:[1,0,0] neg_hi:[1,0,0]
	v_pk_fma_f16 v1, v15, v7, v1 op_sel:[1,0,0] neg_lo:[0,0,1] neg_hi:[0,0,1]
	v_pk_add_f16 v7, v8, v9 op_sel:[0,1] op_sel_hi:[1,0]
	v_pk_add_f16 v8, v8, v9 op_sel:[0,1] op_sel_hi:[1,0] neg_lo:[0,1] neg_hi:[0,1]
	v_pk_add_f16 v10, v10, v9 op_sel:[0,1] op_sel_hi:[1,0] neg_lo:[0,1] neg_hi:[0,1]
	;; [unrolled: 1-line block ×3, first 2 shown]
	v_bfi_b32 v7, s0, v7, v8
	v_bfi_b32 v1, s0, v10, v1
	ds_write_b32 v17, v7
	ds_write_b32 v11, v1 offset:2268
	ds_read_b32 v1, v16 offset:1296
	ds_read_b32 v7, v11 offset:1944
	s_waitcnt lgkmcnt(0)
	v_pk_add_f16 v8, v1, v7 neg_lo:[0,1] neg_hi:[0,1]
	v_pk_add_f16 v1, v1, v7
	v_bfi_b32 v7, s0, v8, v1
	v_bfi_b32 v1, s0, v1, v8
	v_pk_mul_f16 v7, v7, 0.5 op_sel_hi:[1,0]
	v_pk_mul_f16 v1, v1, 0.5 op_sel_hi:[1,0]
	s_waitcnt vmcnt(0)
	v_pk_fma_f16 v8, v6, v7, v1 op_sel:[1,0,0]
	v_pk_mul_f16 v9, v6, v7 op_sel_hi:[0,1]
	v_pk_fma_f16 v10, v6, v7, v1 op_sel:[1,0,0] neg_lo:[1,0,0] neg_hi:[1,0,0]
	v_pk_fma_f16 v1, v6, v7, v1 op_sel:[1,0,0] neg_lo:[0,0,1] neg_hi:[0,0,1]
	v_pk_add_f16 v6, v8, v9 op_sel:[0,1] op_sel_hi:[1,0]
	v_pk_add_f16 v7, v8, v9 op_sel:[0,1] op_sel_hi:[1,0] neg_lo:[0,1] neg_hi:[0,1]
	v_pk_add_f16 v8, v10, v9 op_sel:[0,1] op_sel_hi:[1,0] neg_lo:[0,1] neg_hi:[0,1]
	;; [unrolled: 1-line block ×3, first 2 shown]
	v_bfi_b32 v6, s0, v6, v7
	v_bfi_b32 v1, s0, v8, v1
	ds_write_b32 v16, v6 offset:1296
	ds_write_b32 v11, v1 offset:1944
	s_waitcnt lgkmcnt(0)
	s_barrier
	s_and_saveexec_b64 s[0:1], vcc
	s_cbranch_execz .LBB0_34
; %bb.32:
	ds_read2_b32 v[6:7], v16 offset1:81
	v_mov_b32_e32 v8, s13
	v_add_co_u32_e32 v1, vcc, s12, v2
	v_addc_co_u32_e32 v2, vcc, v8, v3, vcc
	ds_read2_b32 v[8:9], v16 offset0:162 offset1:243
	v_add_co_u32_e32 v3, vcc, v1, v4
	v_addc_co_u32_e32 v4, vcc, v2, v5, vcc
	s_waitcnt lgkmcnt(1)
	global_store_dword v[3:4], v6, off
	global_store_dword v[3:4], v7, off offset:324
	s_waitcnt lgkmcnt(0)
	global_store_dword v[3:4], v8, off offset:648
	global_store_dword v[3:4], v9, off offset:972
	v_add_u32_e32 v5, 0x400, v16
	ds_read2_b32 v[5:6], v5 offset0:68 offset1:149
	v_add_u32_e32 v7, 0x600, v16
	ds_read2_b32 v[7:8], v7 offset0:102 offset1:183
	v_add_u32_e32 v9, 0x800, v16
	s_movk_i32 s0, 0x50
	ds_read2_b32 v[9:10], v9 offset0:136 offset1:217
	v_cmp_eq_u32_e32 vcc, s0, v0
	s_waitcnt lgkmcnt(2)
	global_store_dword v[3:4], v5, off offset:1296
	global_store_dword v[3:4], v6, off offset:1620
	s_waitcnt lgkmcnt(1)
	global_store_dword v[3:4], v7, off offset:1944
	global_store_dword v[3:4], v8, off offset:2268
	;; [unrolled: 3-line block ×3, first 2 shown]
	s_and_b64 exec, exec, vcc
	s_cbranch_execz .LBB0_34
; %bb.33:
	v_mov_b32_e32 v0, 0
	ds_read_b32 v0, v0 offset:3240
	s_waitcnt lgkmcnt(0)
	global_store_dword v[1:2], v0, off offset:3240
.LBB0_34:
	s_endpgm
	.section	.rodata,"a",@progbits
	.p2align	6, 0x0
	.amdhsa_kernel fft_rtc_fwd_len810_factors_3_10_3_3_3_wgs_81_tpt_81_halfLds_half_ip_CI_unitstride_sbrr_R2C_dirReg
		.amdhsa_group_segment_fixed_size 0
		.amdhsa_private_segment_fixed_size 0
		.amdhsa_kernarg_size 88
		.amdhsa_user_sgpr_count 6
		.amdhsa_user_sgpr_private_segment_buffer 1
		.amdhsa_user_sgpr_dispatch_ptr 0
		.amdhsa_user_sgpr_queue_ptr 0
		.amdhsa_user_sgpr_kernarg_segment_ptr 1
		.amdhsa_user_sgpr_dispatch_id 0
		.amdhsa_user_sgpr_flat_scratch_init 0
		.amdhsa_user_sgpr_private_segment_size 0
		.amdhsa_uses_dynamic_stack 0
		.amdhsa_system_sgpr_private_segment_wavefront_offset 0
		.amdhsa_system_sgpr_workgroup_id_x 1
		.amdhsa_system_sgpr_workgroup_id_y 0
		.amdhsa_system_sgpr_workgroup_id_z 0
		.amdhsa_system_sgpr_workgroup_info 0
		.amdhsa_system_vgpr_workitem_id 0
		.amdhsa_next_free_vgpr 62
		.amdhsa_next_free_sgpr 22
		.amdhsa_reserve_vcc 1
		.amdhsa_reserve_flat_scratch 0
		.amdhsa_float_round_mode_32 0
		.amdhsa_float_round_mode_16_64 0
		.amdhsa_float_denorm_mode_32 3
		.amdhsa_float_denorm_mode_16_64 3
		.amdhsa_dx10_clamp 1
		.amdhsa_ieee_mode 1
		.amdhsa_fp16_overflow 0
		.amdhsa_exception_fp_ieee_invalid_op 0
		.amdhsa_exception_fp_denorm_src 0
		.amdhsa_exception_fp_ieee_div_zero 0
		.amdhsa_exception_fp_ieee_overflow 0
		.amdhsa_exception_fp_ieee_underflow 0
		.amdhsa_exception_fp_ieee_inexact 0
		.amdhsa_exception_int_div_zero 0
	.end_amdhsa_kernel
	.text
.Lfunc_end0:
	.size	fft_rtc_fwd_len810_factors_3_10_3_3_3_wgs_81_tpt_81_halfLds_half_ip_CI_unitstride_sbrr_R2C_dirReg, .Lfunc_end0-fft_rtc_fwd_len810_factors_3_10_3_3_3_wgs_81_tpt_81_halfLds_half_ip_CI_unitstride_sbrr_R2C_dirReg
                                        ; -- End function
	.section	.AMDGPU.csdata,"",@progbits
; Kernel info:
; codeLenInByte = 8564
; NumSgprs: 26
; NumVgprs: 62
; ScratchSize: 0
; MemoryBound: 0
; FloatMode: 240
; IeeeMode: 1
; LDSByteSize: 0 bytes/workgroup (compile time only)
; SGPRBlocks: 3
; VGPRBlocks: 15
; NumSGPRsForWavesPerEU: 26
; NumVGPRsForWavesPerEU: 62
; Occupancy: 4
; WaveLimiterHint : 1
; COMPUTE_PGM_RSRC2:SCRATCH_EN: 0
; COMPUTE_PGM_RSRC2:USER_SGPR: 6
; COMPUTE_PGM_RSRC2:TRAP_HANDLER: 0
; COMPUTE_PGM_RSRC2:TGID_X_EN: 1
; COMPUTE_PGM_RSRC2:TGID_Y_EN: 0
; COMPUTE_PGM_RSRC2:TGID_Z_EN: 0
; COMPUTE_PGM_RSRC2:TIDIG_COMP_CNT: 0
	.type	__hip_cuid_1743e079ef549ac,@object ; @__hip_cuid_1743e079ef549ac
	.section	.bss,"aw",@nobits
	.globl	__hip_cuid_1743e079ef549ac
__hip_cuid_1743e079ef549ac:
	.byte	0                               ; 0x0
	.size	__hip_cuid_1743e079ef549ac, 1

	.ident	"AMD clang version 19.0.0git (https://github.com/RadeonOpenCompute/llvm-project roc-6.4.0 25133 c7fe45cf4b819c5991fe208aaa96edf142730f1d)"
	.section	".note.GNU-stack","",@progbits
	.addrsig
	.addrsig_sym __hip_cuid_1743e079ef549ac
	.amdgpu_metadata
---
amdhsa.kernels:
  - .args:
      - .actual_access:  read_only
        .address_space:  global
        .offset:         0
        .size:           8
        .value_kind:     global_buffer
      - .offset:         8
        .size:           8
        .value_kind:     by_value
      - .actual_access:  read_only
        .address_space:  global
        .offset:         16
        .size:           8
        .value_kind:     global_buffer
      - .actual_access:  read_only
        .address_space:  global
        .offset:         24
        .size:           8
        .value_kind:     global_buffer
      - .offset:         32
        .size:           8
        .value_kind:     by_value
      - .actual_access:  read_only
        .address_space:  global
        .offset:         40
        .size:           8
        .value_kind:     global_buffer
      - .actual_access:  read_only
        .address_space:  global
        .offset:         48
        .size:           8
        .value_kind:     global_buffer
      - .offset:         56
        .size:           4
        .value_kind:     by_value
      - .actual_access:  read_only
        .address_space:  global
        .offset:         64
        .size:           8
        .value_kind:     global_buffer
      - .actual_access:  read_only
        .address_space:  global
        .offset:         72
        .size:           8
        .value_kind:     global_buffer
      - .address_space:  global
        .offset:         80
        .size:           8
        .value_kind:     global_buffer
    .group_segment_fixed_size: 0
    .kernarg_segment_align: 8
    .kernarg_segment_size: 88
    .language:       OpenCL C
    .language_version:
      - 2
      - 0
    .max_flat_workgroup_size: 81
    .name:           fft_rtc_fwd_len810_factors_3_10_3_3_3_wgs_81_tpt_81_halfLds_half_ip_CI_unitstride_sbrr_R2C_dirReg
    .private_segment_fixed_size: 0
    .sgpr_count:     26
    .sgpr_spill_count: 0
    .symbol:         fft_rtc_fwd_len810_factors_3_10_3_3_3_wgs_81_tpt_81_halfLds_half_ip_CI_unitstride_sbrr_R2C_dirReg.kd
    .uniform_work_group_size: 1
    .uses_dynamic_stack: false
    .vgpr_count:     62
    .vgpr_spill_count: 0
    .wavefront_size: 64
amdhsa.target:   amdgcn-amd-amdhsa--gfx906
amdhsa.version:
  - 1
  - 2
...

	.end_amdgpu_metadata
